;; amdgpu-corpus repo=ROCm/rocFFT kind=compiled arch=gfx1100 opt=O3
	.text
	.amdgcn_target "amdgcn-amd-amdhsa--gfx1100"
	.amdhsa_code_object_version 6
	.protected	fft_rtc_back_len1500_factors_5_10_10_3_wgs_150_tpt_150_halfLds_dp_ip_CI_sbrr_dirReg ; -- Begin function fft_rtc_back_len1500_factors_5_10_10_3_wgs_150_tpt_150_halfLds_dp_ip_CI_sbrr_dirReg
	.globl	fft_rtc_back_len1500_factors_5_10_10_3_wgs_150_tpt_150_halfLds_dp_ip_CI_sbrr_dirReg
	.p2align	8
	.type	fft_rtc_back_len1500_factors_5_10_10_3_wgs_150_tpt_150_halfLds_dp_ip_CI_sbrr_dirReg,@function
fft_rtc_back_len1500_factors_5_10_10_3_wgs_150_tpt_150_halfLds_dp_ip_CI_sbrr_dirReg: ; @fft_rtc_back_len1500_factors_5_10_10_3_wgs_150_tpt_150_halfLds_dp_ip_CI_sbrr_dirReg
; %bb.0:
	s_clause 0x2
	s_load_b64 s[12:13], s[0:1], 0x18
	s_load_b128 s[4:7], s[0:1], 0x0
	s_load_b64 s[10:11], s[0:1], 0x50
	v_mul_u32_u24_e32 v1, 0x1b5, v0
	v_mov_b32_e32 v3, 0
	v_mov_b32_e32 v4, 0
	s_delay_alu instid0(VALU_DEP_3) | instskip(SKIP_1) | instid1(VALU_DEP_1)
	v_lshrrev_b32_e32 v2, 16, v1
	v_mov_b32_e32 v1, 0
	v_dual_mov_b32 v6, v1 :: v_dual_add_nc_u32 v5, s15, v2
	s_waitcnt lgkmcnt(0)
	s_load_b64 s[8:9], s[12:13], 0x0
	v_cmp_lt_u64_e64 s2, s[6:7], 2
	s_delay_alu instid0(VALU_DEP_1)
	s_and_b32 vcc_lo, exec_lo, s2
	s_cbranch_vccnz .LBB0_8
; %bb.1:
	s_load_b64 s[2:3], s[0:1], 0x10
	v_mov_b32_e32 v3, 0
	s_add_u32 s14, s12, 8
	v_mov_b32_e32 v4, 0
	s_addc_u32 s15, s13, 0
	s_mov_b64 s[18:19], 1
	s_waitcnt lgkmcnt(0)
	s_add_u32 s16, s2, 8
	s_addc_u32 s17, s3, 0
.LBB0_2:                                ; =>This Inner Loop Header: Depth=1
	s_load_b64 s[20:21], s[16:17], 0x0
                                        ; implicit-def: $vgpr7_vgpr8
	s_mov_b32 s2, exec_lo
	s_waitcnt lgkmcnt(0)
	v_or_b32_e32 v2, s21, v6
	s_delay_alu instid0(VALU_DEP_1)
	v_cmpx_ne_u64_e32 0, v[1:2]
	s_xor_b32 s3, exec_lo, s2
	s_cbranch_execz .LBB0_4
; %bb.3:                                ;   in Loop: Header=BB0_2 Depth=1
	v_cvt_f32_u32_e32 v2, s20
	v_cvt_f32_u32_e32 v7, s21
	s_sub_u32 s2, 0, s20
	s_subb_u32 s22, 0, s21
	s_delay_alu instid0(VALU_DEP_1) | instskip(NEXT) | instid1(VALU_DEP_1)
	v_fmac_f32_e32 v2, 0x4f800000, v7
	v_rcp_f32_e32 v2, v2
	s_waitcnt_depctr 0xfff
	v_mul_f32_e32 v2, 0x5f7ffffc, v2
	s_delay_alu instid0(VALU_DEP_1) | instskip(NEXT) | instid1(VALU_DEP_1)
	v_mul_f32_e32 v7, 0x2f800000, v2
	v_trunc_f32_e32 v7, v7
	s_delay_alu instid0(VALU_DEP_1) | instskip(SKIP_1) | instid1(VALU_DEP_2)
	v_fmac_f32_e32 v2, 0xcf800000, v7
	v_cvt_u32_f32_e32 v7, v7
	v_cvt_u32_f32_e32 v2, v2
	s_delay_alu instid0(VALU_DEP_2) | instskip(NEXT) | instid1(VALU_DEP_2)
	v_mul_lo_u32 v8, s2, v7
	v_mul_hi_u32 v9, s2, v2
	v_mul_lo_u32 v10, s22, v2
	s_delay_alu instid0(VALU_DEP_2) | instskip(SKIP_1) | instid1(VALU_DEP_2)
	v_add_nc_u32_e32 v8, v9, v8
	v_mul_lo_u32 v9, s2, v2
	v_add_nc_u32_e32 v8, v8, v10
	s_delay_alu instid0(VALU_DEP_2) | instskip(NEXT) | instid1(VALU_DEP_2)
	v_mul_hi_u32 v10, v2, v9
	v_mul_lo_u32 v11, v2, v8
	v_mul_hi_u32 v12, v2, v8
	v_mul_hi_u32 v13, v7, v9
	v_mul_lo_u32 v9, v7, v9
	v_mul_hi_u32 v14, v7, v8
	v_mul_lo_u32 v8, v7, v8
	v_add_co_u32 v10, vcc_lo, v10, v11
	v_add_co_ci_u32_e32 v11, vcc_lo, 0, v12, vcc_lo
	s_delay_alu instid0(VALU_DEP_2) | instskip(NEXT) | instid1(VALU_DEP_2)
	v_add_co_u32 v9, vcc_lo, v10, v9
	v_add_co_ci_u32_e32 v9, vcc_lo, v11, v13, vcc_lo
	v_add_co_ci_u32_e32 v10, vcc_lo, 0, v14, vcc_lo
	s_delay_alu instid0(VALU_DEP_2) | instskip(NEXT) | instid1(VALU_DEP_2)
	v_add_co_u32 v8, vcc_lo, v9, v8
	v_add_co_ci_u32_e32 v9, vcc_lo, 0, v10, vcc_lo
	s_delay_alu instid0(VALU_DEP_2) | instskip(NEXT) | instid1(VALU_DEP_2)
	v_add_co_u32 v2, vcc_lo, v2, v8
	v_add_co_ci_u32_e32 v7, vcc_lo, v7, v9, vcc_lo
	s_delay_alu instid0(VALU_DEP_2) | instskip(SKIP_1) | instid1(VALU_DEP_3)
	v_mul_hi_u32 v8, s2, v2
	v_mul_lo_u32 v10, s22, v2
	v_mul_lo_u32 v9, s2, v7
	s_delay_alu instid0(VALU_DEP_1) | instskip(SKIP_1) | instid1(VALU_DEP_2)
	v_add_nc_u32_e32 v8, v8, v9
	v_mul_lo_u32 v9, s2, v2
	v_add_nc_u32_e32 v8, v8, v10
	s_delay_alu instid0(VALU_DEP_2) | instskip(NEXT) | instid1(VALU_DEP_2)
	v_mul_hi_u32 v10, v2, v9
	v_mul_lo_u32 v11, v2, v8
	v_mul_hi_u32 v12, v2, v8
	v_mul_hi_u32 v13, v7, v9
	v_mul_lo_u32 v9, v7, v9
	v_mul_hi_u32 v14, v7, v8
	v_mul_lo_u32 v8, v7, v8
	v_add_co_u32 v10, vcc_lo, v10, v11
	v_add_co_ci_u32_e32 v11, vcc_lo, 0, v12, vcc_lo
	s_delay_alu instid0(VALU_DEP_2) | instskip(NEXT) | instid1(VALU_DEP_2)
	v_add_co_u32 v9, vcc_lo, v10, v9
	v_add_co_ci_u32_e32 v9, vcc_lo, v11, v13, vcc_lo
	v_add_co_ci_u32_e32 v10, vcc_lo, 0, v14, vcc_lo
	s_delay_alu instid0(VALU_DEP_2) | instskip(NEXT) | instid1(VALU_DEP_2)
	v_add_co_u32 v8, vcc_lo, v9, v8
	v_add_co_ci_u32_e32 v9, vcc_lo, 0, v10, vcc_lo
	s_delay_alu instid0(VALU_DEP_2) | instskip(NEXT) | instid1(VALU_DEP_2)
	v_add_co_u32 v2, vcc_lo, v2, v8
	v_add_co_ci_u32_e32 v13, vcc_lo, v7, v9, vcc_lo
	s_delay_alu instid0(VALU_DEP_2) | instskip(SKIP_1) | instid1(VALU_DEP_3)
	v_mul_hi_u32 v14, v5, v2
	v_mad_u64_u32 v[9:10], null, v6, v2, 0
	v_mad_u64_u32 v[7:8], null, v5, v13, 0
	;; [unrolled: 1-line block ×3, first 2 shown]
	s_delay_alu instid0(VALU_DEP_2) | instskip(NEXT) | instid1(VALU_DEP_3)
	v_add_co_u32 v2, vcc_lo, v14, v7
	v_add_co_ci_u32_e32 v7, vcc_lo, 0, v8, vcc_lo
	s_delay_alu instid0(VALU_DEP_2) | instskip(NEXT) | instid1(VALU_DEP_2)
	v_add_co_u32 v2, vcc_lo, v2, v9
	v_add_co_ci_u32_e32 v2, vcc_lo, v7, v10, vcc_lo
	v_add_co_ci_u32_e32 v7, vcc_lo, 0, v12, vcc_lo
	s_delay_alu instid0(VALU_DEP_2) | instskip(NEXT) | instid1(VALU_DEP_2)
	v_add_co_u32 v2, vcc_lo, v2, v11
	v_add_co_ci_u32_e32 v9, vcc_lo, 0, v7, vcc_lo
	s_delay_alu instid0(VALU_DEP_2) | instskip(SKIP_1) | instid1(VALU_DEP_3)
	v_mul_lo_u32 v10, s21, v2
	v_mad_u64_u32 v[7:8], null, s20, v2, 0
	v_mul_lo_u32 v11, s20, v9
	s_delay_alu instid0(VALU_DEP_2) | instskip(NEXT) | instid1(VALU_DEP_2)
	v_sub_co_u32 v7, vcc_lo, v5, v7
	v_add3_u32 v8, v8, v11, v10
	s_delay_alu instid0(VALU_DEP_1) | instskip(NEXT) | instid1(VALU_DEP_1)
	v_sub_nc_u32_e32 v10, v6, v8
	v_subrev_co_ci_u32_e64 v10, s2, s21, v10, vcc_lo
	v_add_co_u32 v11, s2, v2, 2
	s_delay_alu instid0(VALU_DEP_1) | instskip(SKIP_3) | instid1(VALU_DEP_3)
	v_add_co_ci_u32_e64 v12, s2, 0, v9, s2
	v_sub_co_u32 v13, s2, v7, s20
	v_sub_co_ci_u32_e32 v8, vcc_lo, v6, v8, vcc_lo
	v_subrev_co_ci_u32_e64 v10, s2, 0, v10, s2
	v_cmp_le_u32_e32 vcc_lo, s20, v13
	s_delay_alu instid0(VALU_DEP_3) | instskip(SKIP_1) | instid1(VALU_DEP_4)
	v_cmp_eq_u32_e64 s2, s21, v8
	v_cndmask_b32_e64 v13, 0, -1, vcc_lo
	v_cmp_le_u32_e32 vcc_lo, s21, v10
	v_cndmask_b32_e64 v14, 0, -1, vcc_lo
	v_cmp_le_u32_e32 vcc_lo, s20, v7
	;; [unrolled: 2-line block ×3, first 2 shown]
	v_cndmask_b32_e64 v15, 0, -1, vcc_lo
	v_cmp_eq_u32_e32 vcc_lo, s21, v10
	s_delay_alu instid0(VALU_DEP_2) | instskip(SKIP_3) | instid1(VALU_DEP_3)
	v_cndmask_b32_e64 v7, v15, v7, s2
	v_cndmask_b32_e32 v10, v14, v13, vcc_lo
	v_add_co_u32 v13, vcc_lo, v2, 1
	v_add_co_ci_u32_e32 v14, vcc_lo, 0, v9, vcc_lo
	v_cmp_ne_u32_e32 vcc_lo, 0, v10
	s_delay_alu instid0(VALU_DEP_2) | instskip(NEXT) | instid1(VALU_DEP_4)
	v_cndmask_b32_e32 v8, v14, v12, vcc_lo
	v_cndmask_b32_e32 v10, v13, v11, vcc_lo
	v_cmp_ne_u32_e32 vcc_lo, 0, v7
	s_delay_alu instid0(VALU_DEP_2)
	v_dual_cndmask_b32 v7, v2, v10 :: v_dual_cndmask_b32 v8, v9, v8
.LBB0_4:                                ;   in Loop: Header=BB0_2 Depth=1
	s_and_not1_saveexec_b32 s2, s3
	s_cbranch_execz .LBB0_6
; %bb.5:                                ;   in Loop: Header=BB0_2 Depth=1
	v_cvt_f32_u32_e32 v2, s20
	s_sub_i32 s3, 0, s20
	s_delay_alu instid0(VALU_DEP_1) | instskip(SKIP_2) | instid1(VALU_DEP_1)
	v_rcp_iflag_f32_e32 v2, v2
	s_waitcnt_depctr 0xfff
	v_mul_f32_e32 v2, 0x4f7ffffe, v2
	v_cvt_u32_f32_e32 v2, v2
	s_delay_alu instid0(VALU_DEP_1) | instskip(NEXT) | instid1(VALU_DEP_1)
	v_mul_lo_u32 v7, s3, v2
	v_mul_hi_u32 v7, v2, v7
	s_delay_alu instid0(VALU_DEP_1) | instskip(NEXT) | instid1(VALU_DEP_1)
	v_add_nc_u32_e32 v2, v2, v7
	v_mul_hi_u32 v2, v5, v2
	s_delay_alu instid0(VALU_DEP_1) | instskip(SKIP_1) | instid1(VALU_DEP_2)
	v_mul_lo_u32 v7, v2, s20
	v_add_nc_u32_e32 v8, 1, v2
	v_sub_nc_u32_e32 v7, v5, v7
	s_delay_alu instid0(VALU_DEP_1) | instskip(SKIP_1) | instid1(VALU_DEP_2)
	v_subrev_nc_u32_e32 v9, s20, v7
	v_cmp_le_u32_e32 vcc_lo, s20, v7
	v_dual_cndmask_b32 v7, v7, v9 :: v_dual_cndmask_b32 v2, v2, v8
	s_delay_alu instid0(VALU_DEP_1) | instskip(NEXT) | instid1(VALU_DEP_2)
	v_cmp_le_u32_e32 vcc_lo, s20, v7
	v_add_nc_u32_e32 v8, 1, v2
	s_delay_alu instid0(VALU_DEP_1)
	v_dual_cndmask_b32 v7, v2, v8 :: v_dual_mov_b32 v8, v1
.LBB0_6:                                ;   in Loop: Header=BB0_2 Depth=1
	s_or_b32 exec_lo, exec_lo, s2
	s_load_b64 s[2:3], s[14:15], 0x0
	s_delay_alu instid0(VALU_DEP_1) | instskip(NEXT) | instid1(VALU_DEP_2)
	v_mul_lo_u32 v2, v8, s20
	v_mul_lo_u32 v11, v7, s21
	v_mad_u64_u32 v[9:10], null, v7, s20, 0
	s_add_u32 s18, s18, 1
	s_addc_u32 s19, s19, 0
	s_add_u32 s14, s14, 8
	s_addc_u32 s15, s15, 0
	;; [unrolled: 2-line block ×3, first 2 shown]
	s_delay_alu instid0(VALU_DEP_1) | instskip(SKIP_1) | instid1(VALU_DEP_2)
	v_add3_u32 v2, v10, v11, v2
	v_sub_co_u32 v9, vcc_lo, v5, v9
	v_sub_co_ci_u32_e32 v2, vcc_lo, v6, v2, vcc_lo
	s_waitcnt lgkmcnt(0)
	s_delay_alu instid0(VALU_DEP_2) | instskip(NEXT) | instid1(VALU_DEP_2)
	v_mul_lo_u32 v10, s3, v9
	v_mul_lo_u32 v2, s2, v2
	v_mad_u64_u32 v[5:6], null, s2, v9, v[3:4]
	v_cmp_ge_u64_e64 s2, s[18:19], s[6:7]
	s_delay_alu instid0(VALU_DEP_1) | instskip(NEXT) | instid1(VALU_DEP_2)
	s_and_b32 vcc_lo, exec_lo, s2
	v_add3_u32 v4, v10, v6, v2
	s_delay_alu instid0(VALU_DEP_3)
	v_mov_b32_e32 v3, v5
	s_cbranch_vccnz .LBB0_9
; %bb.7:                                ;   in Loop: Header=BB0_2 Depth=1
	v_dual_mov_b32 v5, v7 :: v_dual_mov_b32 v6, v8
	s_branch .LBB0_2
.LBB0_8:
	v_dual_mov_b32 v8, v6 :: v_dual_mov_b32 v7, v5
.LBB0_9:
	s_lshl_b64 s[2:3], s[6:7], 3
	v_mul_hi_u32 v1, 0x1b4e81c, v0
	s_add_u32 s2, s12, s2
	s_addc_u32 s3, s13, s3
                                        ; implicit-def: $vgpr74
                                        ; implicit-def: $vgpr75
                                        ; implicit-def: $vgpr71
	s_load_b64 s[2:3], s[2:3], 0x0
	s_load_b64 s[0:1], s[0:1], 0x20
	s_delay_alu instid0(VALU_DEP_1) | instskip(NEXT) | instid1(VALU_DEP_1)
	v_mul_u32_u24_e32 v5, 0x96, v1
	v_sub_nc_u32_e32 v70, v0, v5
	s_delay_alu instid0(VALU_DEP_1)
	v_add_nc_u32_e32 v72, 0x96, v70
	v_add_nc_u32_e32 v73, 0x12c, v70
	s_waitcnt lgkmcnt(0)
	v_mul_lo_u32 v6, s2, v8
	v_mul_lo_u32 v9, s3, v7
	v_mad_u64_u32 v[1:2], null, s2, v7, v[3:4]
	v_cmp_gt_u64_e32 vcc_lo, s[0:1], v[7:8]
	v_cmp_le_u64_e64 s0, s[0:1], v[7:8]
	s_delay_alu instid0(VALU_DEP_3) | instskip(NEXT) | instid1(VALU_DEP_2)
	v_add3_u32 v2, v9, v2, v6
	s_and_saveexec_b32 s1, s0
	s_delay_alu instid0(SALU_CYCLE_1)
	s_xor_b32 s0, exec_lo, s1
; %bb.10:
	v_add_nc_u32_e32 v74, 0x96, v70
	v_add_nc_u32_e32 v75, 0x12c, v70
	;; [unrolled: 1-line block ×3, first 2 shown]
; %bb.11:
	s_or_saveexec_b32 s1, s0
	v_lshlrev_b64 v[40:41], 4, v[1:2]
                                        ; implicit-def: $vgpr10_vgpr11
                                        ; implicit-def: $vgpr14_vgpr15
                                        ; implicit-def: $vgpr22_vgpr23
                                        ; implicit-def: $vgpr38_vgpr39
                                        ; implicit-def: $vgpr34_vgpr35
                                        ; implicit-def: $vgpr6_vgpr7
                                        ; implicit-def: $vgpr2_vgpr3
                                        ; implicit-def: $vgpr30_vgpr31
                                        ; implicit-def: $vgpr26_vgpr27
                                        ; implicit-def: $vgpr18_vgpr19
	s_xor_b32 exec_lo, exec_lo, s1
	s_cbranch_execz .LBB0_13
; %bb.12:
	v_add_nc_u32_e32 v10, 0x258, v70
	v_mad_u64_u32 v[0:1], null, s8, v70, 0
	v_mad_u64_u32 v[2:3], null, s8, v73, 0
	s_delay_alu instid0(VALU_DEP_3) | instskip(SKIP_2) | instid1(VALU_DEP_1)
	v_mad_u64_u32 v[4:5], null, s8, v10, 0
	v_add_nc_u32_e32 v11, 0x384, v70
	v_add_co_u32 v32, s0, s10, v40
	v_add_co_ci_u32_e64 v33, s0, s11, v41, s0
	v_mad_u64_u32 v[6:7], null, s9, v70, v[1:2]
	v_mad_u64_u32 v[7:8], null, s9, v73, v[3:4]
	v_mov_b32_e32 v3, v5
	v_mad_u64_u32 v[8:9], null, s8, v11, 0
	s_delay_alu instid0(VALU_DEP_4) | instskip(NEXT) | instid1(VALU_DEP_3)
	v_dual_mov_b32 v1, v6 :: v_dual_add_nc_u32 v12, 0x4b0, v70
	v_mad_u64_u32 v[5:6], null, s9, v10, v[3:4]
	v_mov_b32_e32 v3, v7
	v_dual_mov_b32 v75, v73 :: v_dual_mov_b32 v74, v72
	s_delay_alu instid0(VALU_DEP_4) | instskip(SKIP_1) | instid1(VALU_DEP_4)
	v_lshlrev_b64 v[0:1], 4, v[0:1]
	v_mov_b32_e32 v6, v9
	v_lshlrev_b64 v[2:3], 4, v[2:3]
	v_lshlrev_b64 v[4:5], 4, v[4:5]
	v_add_nc_u32_e32 v71, 0x1c2, v70
	v_add_nc_u32_e32 v34, 0x546, v70
	v_add_co_u32 v0, s0, v32, v0
	v_mad_u64_u32 v[9:10], null, s9, v11, v[6:7]
	v_add_co_ci_u32_e64 v1, s0, v33, v1, s0
	v_mad_u64_u32 v[6:7], null, s8, v12, 0
	v_add_co_u32 v2, s0, v32, v2
	s_delay_alu instid0(VALU_DEP_1)
	v_add_co_ci_u32_e64 v3, s0, v33, v3, s0
	s_clause 0x1
	global_load_b128 v[16:19], v[0:1], off
	global_load_b128 v[24:27], v[2:3], off
	v_add_co_u32 v0, s0, v32, v4
	v_lshlrev_b64 v[3:4], 4, v[8:9]
	v_mov_b32_e32 v2, v7
	v_mad_u64_u32 v[8:9], null, s8, v72, 0
	v_add_co_ci_u32_e64 v1, s0, v33, v5, s0
	s_delay_alu instid0(VALU_DEP_3) | instskip(SKIP_2) | instid1(VALU_DEP_1)
	v_mad_u64_u32 v[10:11], null, s9, v12, v[2:3]
	v_mad_u64_u32 v[11:12], null, s8, v71, 0
	v_add_co_u32 v2, s0, v32, v3
	v_add_co_ci_u32_e64 v3, s0, v33, v4, s0
	v_dual_mov_b32 v4, v9 :: v_dual_add_nc_u32 v15, 0x2ee, v70
	s_delay_alu instid0(VALU_DEP_4)
	v_dual_mov_b32 v7, v10 :: v_dual_mov_b32 v10, v12
	s_clause 0x1
	global_load_b128 v[28:31], v[0:1], off
	global_load_b128 v[0:3], v[2:3], off
	v_mad_u64_u32 v[13:14], null, s9, v72, v[4:5]
	v_mad_u64_u32 v[4:5], null, s8, v15, 0
	v_lshlrev_b64 v[6:7], 4, v[6:7]
	s_delay_alu instid0(VALU_DEP_3) | instskip(SKIP_1) | instid1(VALU_DEP_3)
	v_mov_b32_e32 v9, v13
	v_mad_u64_u32 v[12:13], null, s9, v71, v[10:11]
	v_mad_u64_u32 v[20:21], null, s9, v15, v[5:6]
	;; [unrolled: 1-line block ×3, first 2 shown]
	v_add_nc_u32_e32 v23, 0x41a, v70
	v_add_co_u32 v6, s0, v32, v6
	s_delay_alu instid0(VALU_DEP_1) | instskip(NEXT) | instid1(VALU_DEP_3)
	v_add_co_ci_u32_e64 v7, s0, v33, v7, s0
	v_mad_u64_u32 v[13:14], null, s8, v23, 0
	v_mov_b32_e32 v5, v20
	s_delay_alu instid0(VALU_DEP_1) | instskip(NEXT) | instid1(VALU_DEP_3)
	v_lshlrev_b64 v[4:5], 4, v[4:5]
	v_mov_b32_e32 v10, v14
	v_lshlrev_b64 v[8:9], 4, v[8:9]
	s_delay_alu instid0(VALU_DEP_2) | instskip(SKIP_2) | instid1(VALU_DEP_4)
	v_mad_u64_u32 v[14:15], null, s9, v23, v[10:11]
	v_mov_b32_e32 v10, v22
	v_lshlrev_b64 v[11:12], 4, v[11:12]
	v_add_co_u32 v8, s0, v32, v8
	s_delay_alu instid0(VALU_DEP_1) | instskip(NEXT) | instid1(VALU_DEP_3)
	v_add_co_ci_u32_e64 v9, s0, v33, v9, s0
	v_mad_u64_u32 v[22:23], null, s9, v34, v[10:11]
	v_add_co_u32 v10, s0, v32, v11
	s_delay_alu instid0(VALU_DEP_1) | instskip(SKIP_2) | instid1(VALU_DEP_1)
	v_add_co_ci_u32_e64 v11, s0, v33, v12, s0
	v_lshlrev_b64 v[12:13], 4, v[13:14]
	v_add_co_u32 v14, s0, v32, v4
	v_add_co_ci_u32_e64 v15, s0, v33, v5, s0
	v_lshlrev_b64 v[4:5], 4, v[21:22]
	s_delay_alu instid0(VALU_DEP_4) | instskip(NEXT) | instid1(VALU_DEP_1)
	v_add_co_u32 v12, s0, v32, v12
	v_add_co_ci_u32_e64 v13, s0, v33, v13, s0
	s_delay_alu instid0(VALU_DEP_3) | instskip(NEXT) | instid1(VALU_DEP_1)
	v_add_co_u32 v42, s0, v32, v4
	v_add_co_ci_u32_e64 v43, s0, v33, v5, s0
	s_clause 0x5
	global_load_b128 v[4:7], v[6:7], off
	global_load_b128 v[32:35], v[8:9], off
	global_load_b128 v[36:39], v[10:11], off
	global_load_b128 v[20:23], v[14:15], off
	global_load_b128 v[12:15], v[12:13], off
	global_load_b128 v[8:11], v[42:43], off
.LBB0_13:
	s_or_b32 exec_lo, exec_lo, s1
	s_waitcnt vmcnt(6)
	v_add_f64 v[42:43], v[0:1], v[28:29]
	s_waitcnt vmcnt(5)
	v_add_f64 v[44:45], v[4:5], v[24:25]
	s_waitcnt vmcnt(1)
	v_add_f64 v[46:47], v[12:13], v[20:21]
	s_waitcnt vmcnt(0)
	v_add_f64 v[48:49], v[8:9], v[36:37]
	v_add_f64 v[52:53], v[26:27], v[18:19]
	v_add_f64 v[54:55], v[2:3], v[30:31]
	v_add_f64 v[58:59], v[26:27], -v[6:7]
	v_add_f64 v[50:51], v[24:25], v[16:17]
	v_add_f64 v[56:57], v[6:7], v[26:27]
	;; [unrolled: 1-line block ×4, first 2 shown]
	v_add_f64 v[64:65], v[30:31], -v[2:3]
	v_add_f64 v[66:67], v[38:39], v[34:35]
	v_add_f64 v[68:69], v[38:39], -v[10:11]
	v_add_f64 v[76:77], v[22:23], -v[14:15]
	s_mov_b32 s6, 0x134454ff
	s_mov_b32 s7, 0xbfee6f0e
	;; [unrolled: 1-line block ×4, first 2 shown]
	v_add_f64 v[78:79], v[28:29], -v[24:25]
	v_add_f64 v[80:81], v[26:27], -v[30:31]
	;; [unrolled: 1-line block ×8, first 2 shown]
	s_mov_b32 s14, 0x4755a5e
	s_mov_b32 s15, 0xbfe2cf23
	;; [unrolled: 1-line block ×11, first 2 shown]
	v_fma_f64 v[42:43], v[42:43], -0.5, v[16:17]
	v_fma_f64 v[16:17], v[44:45], -0.5, v[16:17]
	;; [unrolled: 1-line block ×3, first 2 shown]
	v_add_f64 v[44:45], v[36:37], v[32:33]
	v_fma_f64 v[32:33], v[48:49], -0.5, v[32:33]
	v_add_f64 v[48:49], v[24:25], -v[28:29]
	v_add_f64 v[24:25], v[24:25], -v[4:5]
	v_add_f64 v[30:31], v[30:31], v[52:53]
	v_fma_f64 v[52:53], v[54:55], -0.5, v[18:19]
	v_fma_f64 v[18:19], v[56:57], -0.5, v[18:19]
	;; [unrolled: 1-line block ×4, first 2 shown]
	v_add_f64 v[28:29], v[28:29], v[50:51]
	v_add_f64 v[36:37], v[36:37], -v[8:9]
	v_add_f64 v[50:51], v[8:9], -v[12:13]
	;; [unrolled: 1-line block ×4, first 2 shown]
	v_add_f64 v[22:23], v[22:23], v[66:67]
	v_add_f64 v[56:57], v[12:13], -v[8:9]
	s_mov_b32 s20, s18
	v_add_f64 v[78:79], v[86:87], v[78:79]
	v_add_f64 v[86:87], v[2:3], -v[6:7]
	v_fma_f64 v[92:93], v[58:59], s[6:7], v[42:43]
	v_fma_f64 v[42:43], v[58:59], s[2:3], v[42:43]
	;; [unrolled: 1-line block ×6, first 2 shown]
	v_add_f64 v[44:45], v[20:21], v[44:45]
	v_add_f64 v[20:21], v[20:21], -v[12:13]
	v_fma_f64 v[94:95], v[76:77], s[2:3], v[32:33]
	v_fma_f64 v[32:33], v[76:77], s[6:7], v[32:33]
	v_add_f64 v[48:49], v[82:83], v[48:49]
	v_add_f64 v[82:83], v[6:7], -v[2:3]
	v_add_f64 v[0:1], v[0:1], v[28:29]
	v_add_f64 v[30:31], v[2:3], v[30:31]
	;; [unrolled: 1-line block ×3, first 2 shown]
	v_add_f64 v[88:89], v[10:11], -v[14:15]
	v_add_f64 v[56:57], v[56:57], v[90:91]
	v_add_f64 v[90:91], v[14:15], -v[10:11]
	v_fma_f64 v[92:93], v[64:65], s[14:15], v[92:93]
	v_fma_f64 v[42:43], v[64:65], s[12:13], v[42:43]
	;; [unrolled: 1-line block ×16, first 2 shown]
	v_add_f64 v[28:29], v[12:13], v[44:45]
	v_add_f64 v[44:45], v[82:83], v[80:81]
	;; [unrolled: 1-line block ×6, first 2 shown]
	v_and_b32_e32 v12, 0xff, v70
	v_add_f64 v[0:1], v[4:5], v[0:1]
	v_add_f64 v[30:31], v[6:7], v[30:31]
	v_mad_u32_u24 v26, v70, 40, 0
	v_lshlrev_b32_e32 v27, 5, v70
	v_mul_lo_u16 v2, 0xcd, v12
	s_delay_alu instid0(VALU_DEP_1) | instskip(NEXT) | instid1(VALU_DEP_1)
	v_lshrrev_b16 v2, 10, v2
	v_mul_lo_u16 v3, v2, 5
	v_and_b32_e32 v2, 0xffff, v2
	v_fma_f64 v[42:43], v[48:49], s[16:17], v[42:43]
	v_fma_f64 v[22:23], v[84:85], s[12:13], v[64:65]
	;; [unrolled: 1-line block ×3, first 2 shown]
	v_sub_nc_u16 v3, v70, v3
	v_fma_f64 v[15:16], v[78:79], s[16:17], v[16:17]
	v_fma_f64 v[58:59], v[24:25], s[12:13], v[58:59]
	;; [unrolled: 1-line block ×3, first 2 shown]
	v_mul_u32_u24_e32 v2, 0x190, v2
	v_fma_f64 v[46:47], v[50:51], s[16:17], v[46:47]
	v_fma_f64 v[24:25], v[20:21], s[12:13], v[76:77]
	v_and_b32_e32 v3, 0xff, v3
	v_lshl_add_u32 v77, v75, 3, 0
	v_fma_f64 v[64:65], v[36:37], s[12:13], v[68:69]
	v_fma_f64 v[34:35], v[36:37], s[14:15], v[34:35]
	v_fma_f64 v[20:21], v[20:21], s[14:15], v[60:61]
	v_fma_f64 v[36:37], v[48:49], s[16:17], v[92:93]
	v_fma_f64 v[60:61], v[50:51], s[16:17], v[66:67]
	v_fma_f64 v[48:49], v[78:79], s[16:17], v[62:63]
	v_add_f64 v[4:5], v[8:9], v[28:29]
	v_add_f64 v[9:10], v[10:11], v[13:14]
	v_fma_f64 v[62:63], v[56:57], s[16:17], v[94:95]
	v_fma_f64 v[56:57], v[56:57], s[16:17], v[32:33]
	v_mul_u32_u24_e32 v11, 9, v3
	v_mad_i32_i24 v78, v74, 40, 0
	v_lshlrev_b32_e32 v28, 5, v74
	v_sub_nc_u32_e32 v29, v26, v27
	v_lshl_add_u32 v76, v71, 3, 0
	v_lshlrev_b32_e32 v11, 4, v11
	v_lshlrev_b32_e32 v3, 3, v3
	v_sub_nc_u32_e32 v32, v78, v28
	v_add_nc_u32_e32 v8, 0x1000, v29
	v_add_nc_u32_e32 v7, 0x1c00, v29
	;; [unrolled: 1-line block ×3, first 2 shown]
	v_sub_nc_u32_e32 v27, 0, v27
	ds_store_2addr_b64 v26, v[0:1], v[36:37] offset1:1
	ds_store_2addr_b64 v26, v[48:49], v[15:16] offset0:2 offset1:3
	ds_store_b64 v26, v[42:43] offset:32
	ds_store_2addr_b64 v78, v[4:5], v[60:61] offset1:1
	ds_store_2addr_b64 v78, v[62:63], v[56:57] offset0:2 offset1:3
	ds_store_b64 v78, v[46:47] offset:32
	v_fma_f64 v[50:51], v[44:45], s[16:17], v[22:23]
	v_fma_f64 v[44:45], v[44:45], s[16:17], v[52:53]
	;; [unrolled: 1-line block ×8, first 2 shown]
	s_waitcnt lgkmcnt(0)
	s_barrier
	buffer_gl0_inv
	ds_load_b64 v[4:5], v77
	ds_load_b64 v[87:88], v32
	;; [unrolled: 1-line block ×4, first 2 shown]
	ds_load_2addr_b64 v[13:16], v8 offset0:88 offset1:238
	ds_load_2addr_b64 v[17:20], v7 offset0:4 offset1:154
	;; [unrolled: 1-line block ×3, first 2 shown]
	s_waitcnt lgkmcnt(0)
	s_barrier
	buffer_gl0_inv
	ds_store_2addr_b64 v26, v[30:31], v[50:51] offset1:1
	ds_store_2addr_b64 v26, v[52:53], v[58:59] offset0:2 offset1:3
	ds_store_b64 v26, v[44:45] offset:32
	ds_store_2addr_b64 v78, v[9:10], v[66:67] offset1:1
	ds_store_2addr_b64 v78, v[64:65], v[33:34] offset0:2 offset1:3
	ds_store_b64 v78, v[38:39] offset:32
	s_waitcnt lgkmcnt(0)
	s_barrier
	buffer_gl0_inv
	s_clause 0x8
	global_load_b128 v[33:36], v11, s[4:5] offset:48
	global_load_b128 v[42:45], v11, s[4:5] offset:64
	;; [unrolled: 1-line block ×8, first 2 shown]
	global_load_b128 v[79:82], v11, s[4:5]
	ds_load_2addr_b64 v[83:86], v8 offset0:88 offset1:238
	s_waitcnt vmcnt(8) lgkmcnt(0)
	v_mul_f64 v[9:10], v[83:84], v[35:36]
	v_mul_f64 v[30:31], v[13:14], v[35:36]
	ds_load_2addr_b64 v[35:38], v7 offset0:4 offset1:154
	s_waitcnt vmcnt(7)
	v_mul_f64 v[91:92], v[85:86], v[44:45]
	v_mul_f64 v[44:45], v[15:16], v[44:45]
	s_waitcnt vmcnt(6) lgkmcnt(0)
	v_mul_f64 v[93:94], v[35:36], v[48:49]
	v_fma_f64 v[9:10], v[13:14], v[33:34], v[9:10]
	v_fma_f64 v[30:31], v[83:84], v[33:34], -v[30:31]
	v_mul_f64 v[33:34], v[17:18], v[48:49]
	s_waitcnt vmcnt(5)
	v_mul_f64 v[48:49], v[37:38], v[52:53]
	v_mul_f64 v[52:53], v[19:20], v[52:53]
	v_fma_f64 v[83:84], v[15:16], v[42:43], v[91:92]
	ds_load_b64 v[91:92], v77
	v_fma_f64 v[42:43], v[85:86], v[42:43], -v[44:45]
	ds_load_2addr_b64 v[13:16], v6 offset0:48 offset1:198
	ds_load_b64 v[44:45], v76
	ds_load_b64 v[85:86], v29
	v_fma_f64 v[17:18], v[17:18], v[46:47], v[93:94]
	v_fma_f64 v[33:34], v[35:36], v[46:47], -v[33:34]
	s_waitcnt vmcnt(4) lgkmcnt(3)
	v_mul_f64 v[35:36], v[91:92], v[56:57]
	v_mul_f64 v[46:47], v[4:5], v[56:57]
	v_fma_f64 v[19:20], v[19:20], v[50:51], v[48:49]
	s_waitcnt vmcnt(3) lgkmcnt(2)
	v_mul_f64 v[48:49], v[13:14], v[60:61]
	v_fma_f64 v[37:38], v[37:38], v[50:51], -v[52:53]
	s_waitcnt vmcnt(2)
	v_mul_f64 v[50:51], v[89:90], v[64:65]
	s_waitcnt vmcnt(1)
	v_mul_f64 v[52:53], v[23:24], v[68:69]
	ds_load_b64 v[56:57], v32
	v_mul_f64 v[60:61], v[21:22], v[60:61]
	s_waitcnt lgkmcnt(2)
	v_mul_f64 v[64:65], v[44:45], v[64:65]
	s_waitcnt vmcnt(0) lgkmcnt(0)
	s_barrier
	buffer_gl0_inv
	v_fma_f64 v[4:5], v[4:5], v[54:55], v[35:36]
	v_mul_f64 v[35:36], v[15:16], v[68:69]
	v_fma_f64 v[46:47], v[91:92], v[54:55], -v[46:47]
	v_mul_f64 v[54:55], v[56:57], v[81:82]
	v_mul_f64 v[68:69], v[87:88], v[81:82]
	v_fma_f64 v[21:22], v[21:22], v[58:59], v[48:49]
	v_fma_f64 v[44:45], v[44:45], v[62:63], -v[50:51]
	v_fma_f64 v[15:16], v[15:16], v[66:67], -v[52:53]
	;; [unrolled: 1-line block ×3, first 2 shown]
	v_fma_f64 v[48:49], v[89:90], v[62:63], v[64:65]
	v_add_f64 v[50:51], v[83:84], v[19:20]
	v_add_f64 v[60:61], v[42:43], v[37:38]
	v_add_f64 v[58:59], v[9:10], -v[4:5]
	v_fma_f64 v[23:24], v[23:24], v[66:67], v[35:36]
	v_add_f64 v[66:67], v[46:47], -v[30:31]
	v_fma_f64 v[35:36], v[87:88], v[79:80], v[54:55]
	v_fma_f64 v[52:53], v[56:57], v[79:80], -v[68:69]
	v_add_f64 v[54:55], v[4:5], -v[9:10]
	v_add_f64 v[56:57], v[21:22], -v[17:18]
	;; [unrolled: 1-line block ×3, first 2 shown]
	v_add_f64 v[64:65], v[44:45], v[15:16]
	v_add_f64 v[68:69], v[13:14], -v[33:34]
	v_add_f64 v[79:80], v[48:49], -v[83:84]
	;; [unrolled: 1-line block ×6, first 2 shown]
	v_add_f64 v[81:82], v[48:49], v[23:24]
	v_add_f64 v[87:88], v[23:24], -v[19:20]
	v_fma_f64 v[50:51], v[50:51], -0.5, v[35:36]
	v_add_f64 v[93:94], v[19:20], -v[23:24]
	v_fma_f64 v[60:61], v[60:61], -0.5, v[52:53]
	v_add_f64 v[54:55], v[54:55], v[56:57]
	v_add_f64 v[56:57], v[48:49], -v[23:24]
	v_add_f64 v[58:59], v[58:59], v[62:63]
	v_add_f64 v[62:63], v[83:84], -v[19:20]
	v_fma_f64 v[64:65], v[64:65], -0.5, v[52:53]
	v_add_f64 v[52:53], v[52:53], v[44:45]
	v_add_f64 v[44:45], v[42:43], -v[44:45]
	v_add_f64 v[66:67], v[66:67], v[68:69]
	v_add_f64 v[68:69], v[37:38], -v[15:16]
	v_add_f64 v[48:49], v[35:36], v[48:49]
	v_add_f64 v[95:96], v[95:96], v[97:98]
	v_fma_f64 v[35:36], v[81:82], -0.5, v[35:36]
	v_add_f64 v[81:82], v[42:43], -v[37:38]
	v_add_f64 v[79:80], v[79:80], v[87:88]
	v_fma_f64 v[87:88], v[89:90], s[6:7], v[50:51]
	v_fma_f64 v[50:51], v[89:90], s[2:3], v[50:51]
	v_add_f64 v[91:92], v[91:92], v[93:94]
	v_fma_f64 v[93:94], v[56:57], s[2:3], v[60:61]
	v_fma_f64 v[60:61], v[56:57], s[6:7], v[60:61]
	;; [unrolled: 1-line block ×4, first 2 shown]
	v_add_f64 v[42:43], v[52:53], v[42:43]
	v_add_f64 v[52:53], v[33:34], -v[13:14]
	v_add_f64 v[44:45], v[44:45], v[68:69]
	v_add_f64 v[68:69], v[30:31], v[33:34]
	;; [unrolled: 1-line block ×3, first 2 shown]
	v_fma_f64 v[83:84], v[81:82], s[2:3], v[35:36]
	v_fma_f64 v[35:36], v[81:82], s[6:7], v[35:36]
	;; [unrolled: 1-line block ×4, first 2 shown]
	v_add_f64 v[81:82], v[46:47], v[13:14]
	v_fma_f64 v[93:94], v[62:63], s[12:13], v[93:94]
	v_fma_f64 v[60:61], v[62:63], s[14:15], v[60:61]
	v_add_f64 v[62:63], v[9:10], v[17:18]
	v_fma_f64 v[97:98], v[56:57], s[12:13], v[97:98]
	v_fma_f64 v[56:57], v[56:57], s[14:15], v[64:65]
	v_add_f64 v[64:65], v[4:5], v[21:22]
	v_add_f64 v[37:38], v[42:43], v[37:38]
	v_fma_f64 v[68:69], v[68:69], -0.5, v[85:86]
	v_fma_f64 v[83:84], v[89:90], s[14:15], v[83:84]
	v_fma_f64 v[35:36], v[89:90], s[12:13], v[35:36]
	v_add_f64 v[89:90], v[46:47], -v[13:14]
	v_fma_f64 v[50:51], v[79:80], s[16:17], v[50:51]
	v_fma_f64 v[81:82], v[81:82], -0.5, v[85:86]
	v_add_f64 v[85:86], v[85:86], v[46:47]
	v_add_f64 v[46:47], v[30:31], -v[46:47]
	v_fma_f64 v[62:63], v[62:63], -0.5, v[0:1]
	v_fma_f64 v[93:94], v[95:96], s[16:17], v[93:94]
	v_fma_f64 v[60:61], v[95:96], s[16:17], v[60:61]
	v_fma_f64 v[64:65], v[64:65], -0.5, v[0:1]
	v_add_f64 v[0:1], v[0:1], v[4:5]
	v_add_f64 v[4:5], v[4:5], -v[21:22]
	v_fma_f64 v[97:98], v[44:45], s[16:17], v[97:98]
	v_fma_f64 v[44:45], v[44:45], s[16:17], v[56:57]
	v_add_f64 v[15:16], v[37:38], v[15:16]
	v_fma_f64 v[35:36], v[91:92], s[16:17], v[35:36]
	v_add_f64 v[85:86], v[85:86], v[30:31]
	v_add_f64 v[30:31], v[30:31], -v[33:34]
	v_fma_f64 v[95:96], v[89:90], s[6:7], v[62:63]
	v_fma_f64 v[62:63], v[89:90], s[2:3], v[62:63]
	v_add_f64 v[46:47], v[46:47], v[52:53]
	v_add_f64 v[0:1], v[0:1], v[9:10]
	v_add_f64 v[9:10], v[9:10], -v[17:18]
	v_mul_f64 v[52:53], v[97:98], s[16:17]
	v_add_f64 v[33:34], v[85:86], v[33:34]
	v_fma_f64 v[56:57], v[30:31], s[2:3], v[64:65]
	v_fma_f64 v[64:65], v[30:31], s[6:7], v[64:65]
	v_fma_f64 v[95:96], v[30:31], s[14:15], v[95:96]
	v_fma_f64 v[30:31], v[30:31], s[12:13], v[62:63]
	v_add_f64 v[0:1], v[0:1], v[17:18]
	v_add_f64 v[17:18], v[48:49], v[19:20]
	v_fma_f64 v[19:20], v[4:5], s[2:3], v[68:69]
	v_fma_f64 v[48:49], v[4:5], s[6:7], v[68:69]
	;; [unrolled: 1-line block ×4, first 2 shown]
	v_add_f64 v[13:14], v[33:34], v[13:14]
	v_fma_f64 v[56:57], v[89:90], s[14:15], v[56:57]
	v_fma_f64 v[62:63], v[89:90], s[12:13], v[64:65]
	;; [unrolled: 1-line block ×4, first 2 shown]
	v_mul_f64 v[83:84], v[93:94], s[14:15]
	v_mul_f64 v[87:88], v[97:98], s[6:7]
	v_mul_f64 v[89:90], v[44:45], s[6:7]
	v_fma_f64 v[19:20], v[9:10], s[12:13], v[19:20]
	v_fma_f64 v[9:10], v[9:10], s[14:15], v[48:49]
	v_mul_f64 v[48:49], v[93:94], s[18:19]
	v_fma_f64 v[42:43], v[4:5], s[12:13], v[68:69]
	v_fma_f64 v[4:5], v[4:5], s[14:15], v[81:82]
	v_mul_f64 v[44:45], v[44:45], s[0:1]
	v_mul_f64 v[91:92], v[60:61], s[14:15]
	;; [unrolled: 1-line block ×3, first 2 shown]
	v_add_f64 v[0:1], v[0:1], v[21:22]
	v_add_f64 v[17:18], v[17:18], v[23:24]
	v_fma_f64 v[21:22], v[54:55], s[16:17], v[95:96]
	v_fma_f64 v[23:24], v[54:55], s[16:17], v[30:31]
	;; [unrolled: 1-line block ×16, first 2 shown]
	v_mul_lo_u16 v9, v12, 41
	v_add_f64 v[46:47], v[0:1], v[17:18]
	v_add_f64 v[0:1], v[0:1], -v[17:18]
	s_delay_alu instid0(VALU_DEP_3) | instskip(NEXT) | instid1(VALU_DEP_1)
	v_lshrrev_b16 v9, 11, v9
	v_mul_lo_u16 v12, v9, 50
	s_delay_alu instid0(VALU_DEP_1)
	v_sub_nc_u16 v25, v70, v12
	v_add_f64 v[17:18], v[21:22], v[56:57]
	v_add_f64 v[21:22], v[21:22], -v[56:57]
	v_add_f64 v[56:57], v[13:14], v[15:16]
	v_add_f64 v[12:13], v[13:14], -v[15:16]
	v_add_f64 v[48:49], v[30:31], v[58:59]
	v_add_f64 v[14:15], v[19:20], v[37:38]
	;; [unrolled: 1-line block ×3, first 2 shown]
	v_add_f64 v[30:31], v[30:31], -v[58:59]
	v_add_f64 v[58:59], v[33:34], v[42:43]
	v_add_f64 v[60:61], v[4:5], v[35:36]
	;; [unrolled: 1-line block ×3, first 2 shown]
	v_add_f64 v[54:55], v[54:55], -v[62:63]
	v_add_f64 v[62:63], v[10:11], v[44:45]
	v_add_f64 v[37:38], v[19:20], -v[37:38]
	v_add_f64 v[42:43], v[33:34], -v[42:43]
	;; [unrolled: 1-line block ×5, first 2 shown]
	v_and_b32_e32 v10, 0xff, v25
	v_add3_u32 v11, 0, v2, v3
	ds_store_2addr_b64 v11, v[46:47], v[17:18] offset1:5
	ds_store_2addr_b64 v11, v[48:49], v[50:51] offset0:10 offset1:15
	ds_store_2addr_b64 v11, v[52:53], v[0:1] offset0:20 offset1:25
	;; [unrolled: 1-line block ×4, first 2 shown]
	v_mul_u32_u24_e32 v4, 9, v10
	s_waitcnt lgkmcnt(0)
	s_barrier
	buffer_gl0_inv
	v_lshlrev_b32_e32 v16, 4, v4
	ds_load_b64 v[24:25], v77
	ds_load_b64 v[18:19], v32
	;; [unrolled: 1-line block ×4, first 2 shown]
	ds_load_2addr_b64 v[20:23], v8 offset0:88 offset1:238
	ds_load_2addr_b64 v[0:3], v7 offset0:4 offset1:154
	;; [unrolled: 1-line block ×3, first 2 shown]
	s_waitcnt lgkmcnt(0)
	s_barrier
	buffer_gl0_inv
	ds_store_2addr_b64 v11, v[56:57], v[14:15] offset1:5
	ds_store_2addr_b64 v11, v[58:59], v[60:61] offset0:10 offset1:15
	ds_store_2addr_b64 v11, v[62:63], v[12:13] offset0:20 offset1:25
	;; [unrolled: 1-line block ×4, first 2 shown]
	s_waitcnt lgkmcnt(0)
	s_barrier
	buffer_gl0_inv
	s_clause 0x8
	global_load_b128 v[11:14], v16, s[4:5] offset:720
	global_load_b128 v[42:45], v16, s[4:5] offset:752
	;; [unrolled: 1-line block ×9, first 2 shown]
	ds_load_b64 v[37:38], v32
	ds_load_b64 v[91:92], v76
	ds_load_b64 v[16:17], v29
	ds_load_2addr_b64 v[83:86], v8 offset0:88 offset1:238
	ds_load_b64 v[93:94], v77
	s_waitcnt vmcnt(8) lgkmcnt(4)
	v_mul_f64 v[87:88], v[37:38], v[13:14]
	v_mul_f64 v[13:14], v[18:19], v[13:14]
	s_waitcnt vmcnt(7) lgkmcnt(3)
	v_mul_f64 v[95:96], v[91:92], v[44:45]
	v_mul_f64 v[44:45], v[30:31], v[44:45]
	s_delay_alu instid0(VALU_DEP_4) | instskip(NEXT) | instid1(VALU_DEP_4)
	v_fma_f64 v[97:98], v[18:19], v[11:12], v[87:88]
	v_fma_f64 v[18:19], v[37:38], v[11:12], -v[13:14]
	ds_load_2addr_b64 v[87:90], v7 offset0:4 offset1:154
	s_waitcnt vmcnt(6) lgkmcnt(2)
	v_mul_f64 v[7:8], v[85:86], v[48:49]
	v_mul_f64 v[11:12], v[22:23], v[48:49]
	s_waitcnt vmcnt(5)
	v_mul_f64 v[13:14], v[2:3], v[52:53]
	s_waitcnt vmcnt(4)
	v_mul_f64 v[37:38], v[35:36], v[56:57]
	v_fma_f64 v[95:96], v[30:31], v[42:43], v[95:96]
	v_fma_f64 v[30:31], v[91:92], v[42:43], -v[44:45]
	ds_load_2addr_b64 v[42:45], v6 offset0:48 offset1:198
	s_waitcnt vmcnt(0) lgkmcnt(0)
	s_barrier
	buffer_gl0_inv
	v_mul_f64 v[48:49], v[89:90], v[52:53]
	v_mul_f64 v[52:53], v[42:43], v[60:61]
	v_fma_f64 v[6:7], v[22:23], v[46:47], v[7:8]
	v_fma_f64 v[22:23], v[85:86], v[46:47], -v[11:12]
	v_mul_f64 v[46:47], v[44:45], v[56:57]
	v_fma_f64 v[14:15], v[89:90], v[50:51], -v[13:14]
	v_fma_f64 v[12:13], v[44:45], v[54:55], -v[37:38]
	v_mul_f64 v[37:38], v[83:84], v[64:65]
	v_mul_f64 v[44:45], v[87:88], v[68:69]
	v_fma_f64 v[2:3], v[2:3], v[50:51], v[48:49]
	v_mul_f64 v[48:49], v[93:94], v[81:82]
	v_fma_f64 v[50:51], v[33:34], v[58:59], v[52:53]
	v_mul_f64 v[33:34], v[33:34], v[60:61]
	v_mul_f64 v[60:61], v[20:21], v[64:65]
	v_fma_f64 v[35:36], v[35:36], v[54:55], v[46:47]
	v_mul_f64 v[54:55], v[24:25], v[81:82]
	v_add_f64 v[56:57], v[30:31], v[12:13]
	v_fma_f64 v[38:39], v[20:21], v[62:63], v[37:38]
	v_add_f64 v[20:21], v[22:23], v[14:15]
	v_fma_f64 v[46:47], v[0:1], v[66:67], v[44:45]
	v_mul_f64 v[0:1], v[0:1], v[68:69]
	v_add_f64 v[81:82], v[30:31], -v[12:13]
	v_add_f64 v[89:90], v[22:23], -v[14:15]
	;; [unrolled: 1-line block ×3, first 2 shown]
	v_fma_f64 v[52:53], v[24:25], v[79:80], v[48:49]
	v_add_f64 v[24:25], v[6:7], v[2:3]
	v_fma_f64 v[48:49], v[83:84], v[62:63], -v[60:61]
	v_add_f64 v[60:61], v[22:23], -v[30:31]
	v_add_f64 v[62:63], v[14:15], -v[12:13]
	;; [unrolled: 1-line block ×3, first 2 shown]
	v_fma_f64 v[44:45], v[93:94], v[79:80], -v[54:55]
	v_add_f64 v[54:55], v[95:96], v[35:36]
	v_fma_f64 v[56:57], v[56:57], -0.5, v[18:19]
	v_fma_f64 v[79:80], v[20:21], -0.5, v[18:19]
	v_fma_f64 v[20:21], v[42:43], v[58:59], -v[33:34]
	v_add_f64 v[33:34], v[30:31], -v[22:23]
	v_add_f64 v[58:59], v[12:13], -v[14:15]
	v_add_f64 v[83:84], v[38:39], v[46:47]
	v_fma_f64 v[42:43], v[87:88], v[66:67], -v[0:1]
	v_add_f64 v[87:88], v[95:96], -v[6:7]
	v_add_f64 v[93:94], v[35:36], -v[2:3]
	v_add_f64 v[85:86], v[52:53], v[50:51]
	v_fma_f64 v[24:25], v[24:25], -0.5, v[97:98]
	v_add_f64 v[60:61], v[60:61], v[62:63]
	v_fma_f64 v[54:55], v[54:55], -0.5, v[97:98]
	v_fma_f64 v[91:92], v[64:65], s[6:7], v[56:57]
	v_fma_f64 v[0:1], v[68:69], s[2:3], v[79:80]
	;; [unrolled: 1-line block ×4, first 2 shown]
	v_add_f64 v[79:80], v[97:98], v[95:96]
	v_add_f64 v[33:34], v[33:34], v[58:59]
	;; [unrolled: 1-line block ×3, first 2 shown]
	v_fma_f64 v[62:63], v[83:84], -0.5, v[4:5]
	v_add_f64 v[99:100], v[44:45], -v[20:21]
	v_add_f64 v[95:96], v[6:7], -v[95:96]
	;; [unrolled: 1-line block ×4, first 2 shown]
	v_add_f64 v[87:88], v[87:88], v[93:94]
	v_add_f64 v[93:94], v[50:51], -v[46:47]
	v_fma_f64 v[4:5], v[85:86], -0.5, v[4:5]
	v_fma_f64 v[83:84], v[81:82], s[6:7], v[24:25]
	v_fma_f64 v[24:25], v[81:82], s[2:3], v[24:25]
	;; [unrolled: 1-line block ×8, first 2 shown]
	v_add_f64 v[6:7], v[79:80], v[6:7]
	v_add_f64 v[79:80], v[52:53], -v[38:39]
	v_add_f64 v[58:59], v[58:59], v[38:39]
	v_add_f64 v[95:96], v[95:96], v[97:98]
	v_add_f64 v[97:98], v[38:39], -v[52:53]
	v_fma_f64 v[83:84], v[89:90], s[14:15], v[83:84]
	v_fma_f64 v[24:25], v[89:90], s[12:13], v[24:25]
	v_add_f64 v[89:90], v[46:47], -v[50:51]
	v_fma_f64 v[85:86], v[81:82], s[14:15], v[85:86]
	v_fma_f64 v[81:82], v[81:82], s[12:13], v[54:55]
	;; [unrolled: 1-line block ×10, first 2 shown]
	v_add_f64 v[0:1], v[79:80], v[93:94]
	v_add_f64 v[79:80], v[58:59], v[46:47]
	;; [unrolled: 1-line block ×3, first 2 shown]
	v_fma_f64 v[58:59], v[87:88], s[16:17], v[83:84]
	v_add_f64 v[33:34], v[97:98], v[89:90]
	v_fma_f64 v[64:65], v[95:96], s[16:17], v[81:82]
	v_fma_f64 v[6:7], v[101:102], s[14:15], v[54:55]
	;; [unrolled: 1-line block ×3, first 2 shown]
	v_mul_f64 v[24:25], v[68:69], s[14:15]
	v_fma_f64 v[89:90], v[101:102], s[12:13], v[62:63]
	v_fma_f64 v[62:63], v[95:96], s[16:17], v[85:86]
	;; [unrolled: 1-line block ×4, first 2 shown]
	v_mul_f64 v[81:82], v[66:67], s[6:7]
	v_mul_f64 v[83:84], v[56:57], s[6:7]
	v_mul_f64 v[85:86], v[60:61], s[14:15]
	v_add_f64 v[79:80], v[79:80], v[50:51]
	v_add_f64 v[2:3], v[2:3], v[35:36]
	v_fma_f64 v[6:7], v[0:1], s[16:17], v[6:7]
	v_fma_f64 v[24:25], v[58:59], s[18:19], v[24:25]
	;; [unrolled: 1-line block ×8, first 2 shown]
	v_cmp_gt_u32_e64 s0, 50, v70
	v_add_f64 v[85:86], v[79:80], v[2:3]
	v_add_f64 v[2:3], v[79:80], -v[2:3]
	v_add_f64 v[87:88], v[6:7], v[24:25]
	v_add_f64 v[6:7], v[6:7], -v[24:25]
	v_add_f64 v[89:90], v[35:36], v[33:34]
	v_add_f64 v[91:92], v[4:5], v[81:82]
	;; [unrolled: 1-line block ×3, first 2 shown]
	v_add_f64 v[33:34], v[35:36], -v[33:34]
	v_add_f64 v[4:5], v[4:5], -v[81:82]
	;; [unrolled: 1-line block ×3, first 2 shown]
	v_and_b32_e32 v0, 0xffff, v9
	v_lshlrev_b32_e32 v1, 3, v10
	v_add_nc_u32_e32 v35, 0x2200, v29
	v_sub_nc_u32_e32 v82, 0, v28
	v_add_nc_u32_e32 v81, v26, v27
	v_mul_u32_u24_e32 v0, 0xfa0, v0
                                        ; implicit-def: $vgpr26_vgpr27
	s_delay_alu instid0(VALU_DEP_1) | instskip(SKIP_2) | instid1(VALU_DEP_3)
	v_add3_u32 v79, 0, v0, v1
	v_add_nc_u32_e32 v0, 0xe00, v29
	v_add_nc_u32_e32 v1, 0x1800, v29
	;; [unrolled: 1-line block ×3, first 2 shown]
	ds_store_2addr_b64 v79, v[85:86], v[87:88] offset1:50
	ds_store_2addr_b64 v79, v[89:90], v[91:92] offset0:100 offset1:150
	ds_store_2addr_b64 v79, v[93:94], v[2:3] offset0:200 offset1:250
	;; [unrolled: 1-line block ×4, first 2 shown]
	s_waitcnt lgkmcnt(0)
	s_barrier
	buffer_gl0_inv
	ds_load_2addr_b64 v[8:11], v0 offset0:52 offset1:202
	ds_load_2addr_b64 v[0:3], v1 offset0:32 offset1:232
	;; [unrolled: 1-line block ×3, first 2 shown]
	ds_load_b64 v[34:35], v32
	ds_load_b64 v[36:37], v29
	;; [unrolled: 1-line block ×3, first 2 shown]
                                        ; implicit-def: $vgpr28_vgpr29
	s_and_saveexec_b32 s1, s0
	s_cbranch_execz .LBB0_15
; %bb.14:
	ds_load_b64 v[24:25], v76
	ds_load_b64 v[28:29], v81 offset:7600
	ds_load_b64 v[26:27], v81 offset:11600
.LBB0_15:
	s_or_b32 exec_lo, exec_lo, s1
	v_add_f64 v[83:84], v[48:49], v[42:43]
	v_add_f64 v[85:86], v[44:45], v[20:21]
	;; [unrolled: 1-line block ×3, first 2 shown]
	v_add_f64 v[50:51], v[52:53], -v[50:51]
	v_add_f64 v[18:19], v[18:19], v[30:31]
	v_add_f64 v[30:31], v[38:39], -v[46:47]
	v_add_f64 v[46:47], v[44:45], -v[48:49]
	v_add_f64 v[52:53], v[20:21], -v[42:43]
	v_add_f64 v[44:45], v[48:49], -v[44:45]
	v_mul_f64 v[68:69], v[68:69], s[18:19]
	v_mul_f64 v[66:67], v[66:67], s[16:17]
	;; [unrolled: 1-line block ×4, first 2 shown]
	s_waitcnt lgkmcnt(0)
	s_barrier
	buffer_gl0_inv
	v_fma_f64 v[38:39], v[83:84], -0.5, v[16:17]
	v_fma_f64 v[16:17], v[85:86], -0.5, v[16:17]
	v_add_f64 v[48:49], v[87:88], v[48:49]
	v_add_f64 v[18:19], v[18:19], v[22:23]
	v_add_f64 v[22:23], v[42:43], -v[20:21]
	v_add_f64 v[46:47], v[46:47], v[52:53]
	v_fma_f64 v[83:84], v[50:51], s[2:3], v[38:39]
	v_fma_f64 v[85:86], v[30:31], s[6:7], v[16:17]
	;; [unrolled: 1-line block ×4, first 2 shown]
	v_add_f64 v[42:43], v[48:49], v[42:43]
	v_add_f64 v[14:15], v[18:19], v[14:15]
	v_add_f64 v[18:19], v[44:45], v[22:23]
	v_fma_f64 v[48:49], v[62:63], s[2:3], v[66:67]
	v_fma_f64 v[22:23], v[30:31], s[12:13], v[83:84]
	;; [unrolled: 1-line block ×6, first 2 shown]
	v_add_f64 v[20:21], v[42:43], v[20:21]
	v_add_f64 v[12:13], v[14:15], v[12:13]
	v_fma_f64 v[50:51], v[64:65], s[2:3], -v[56:57]
	v_fma_f64 v[14:15], v[54:55], s[12:13], -v[60:61]
	v_fma_f64 v[22:23], v[46:47], s[16:17], v[22:23]
	v_fma_f64 v[42:43], v[18:19], s[16:17], v[44:45]
	;; [unrolled: 1-line block ×4, first 2 shown]
	v_add_f64 v[44:45], v[20:21], v[12:13]
	v_add_f64 v[12:13], v[20:21], -v[12:13]
	v_add_f64 v[20:21], v[22:23], v[38:39]
	v_add_f64 v[46:47], v[42:43], v[48:49]
	;; [unrolled: 1-line block ×4, first 2 shown]
	v_add_f64 v[22:23], v[22:23], -v[38:39]
	v_add_f64 v[38:39], v[42:43], -v[48:49]
	;; [unrolled: 1-line block ×4, first 2 shown]
	v_add_nc_u32_e32 v14, 0xe00, v81
	v_add_nc_u32_e32 v18, 0x1800, v81
	;; [unrolled: 1-line block ×4, first 2 shown]
	ds_store_2addr_b64 v79, v[44:45], v[20:21] offset1:50
	ds_store_2addr_b64 v79, v[46:47], v[52:53] offset0:100 offset1:150
	ds_store_2addr_b64 v79, v[54:55], v[12:13] offset0:200 offset1:250
	;; [unrolled: 1-line block ×4, first 2 shown]
	s_waitcnt lgkmcnt(0)
	s_barrier
	buffer_gl0_inv
	ds_load_2addr_b64 v[12:15], v14 offset0:52 offset1:202
	ds_load_2addr_b64 v[16:19], v18 offset0:32 offset1:232
	;; [unrolled: 1-line block ×3, first 2 shown]
	ds_load_b64 v[46:47], v81
	ds_load_b64 v[48:49], v42
	;; [unrolled: 1-line block ×3, first 2 shown]
                                        ; implicit-def: $vgpr38_vgpr39
                                        ; implicit-def: $vgpr42_vgpr43
	s_and_saveexec_b32 s1, s0
	s_cbranch_execz .LBB0_17
; %bb.16:
	ds_load_b64 v[30:31], v76
	ds_load_b64 v[42:43], v81 offset:7600
	ds_load_b64 v[38:39], v81 offset:11600
.LBB0_17:
	s_or_b32 exec_lo, exec_lo, s1
	s_and_saveexec_b32 s1, vcc_lo
	s_cbranch_execz .LBB0_20
; %bb.18:
	v_dual_mov_b32 v45, 0 :: v_dual_lshlrev_b32 v44, 1, v75
	v_mad_u64_u32 v[92:93], null, s8, v70, 0
	v_add_nc_u32_e32 v94, 0x1f4, v70
	v_mul_hi_u32 v96, 0x10624dd3, v72
	s_delay_alu instid0(VALU_DEP_4)
	v_lshlrev_b64 v[52:53], 4, v[44:45]
	v_lshlrev_b32_e32 v44, 1, v74
	v_mul_hi_u32 v97, 0x10624dd3, v73
	v_add_nc_u32_e32 v95, 0x3e8, v70
	s_mov_b32 s2, 0xe8584caa
	s_mov_b32 s3, 0xbfebb67a
	v_lshlrev_b64 v[54:55], 4, v[44:45]
	v_lshlrev_b32_e32 v44, 1, v70
	v_add_co_u32 v58, vcc_lo, s4, v52
	v_add_co_ci_u32_e32 v59, vcc_lo, s5, v53, vcc_lo
	s_delay_alu instid0(VALU_DEP_3) | instskip(NEXT) | instid1(VALU_DEP_3)
	v_lshlrev_b64 v[52:53], 4, v[44:45]
	v_add_co_u32 v56, vcc_lo, 0x1ef0, v58
	s_delay_alu instid0(VALU_DEP_3) | instskip(SKIP_4) | instid1(VALU_DEP_4)
	v_add_co_ci_u32_e32 v57, vcc_lo, 0, v59, vcc_lo
	v_add_co_u32 v44, vcc_lo, s4, v54
	v_add_co_ci_u32_e32 v54, vcc_lo, s5, v55, vcc_lo
	v_add_co_u32 v52, vcc_lo, s4, v52
	;; [unrolled: 2-line block ×3, first 2 shown]
	s_delay_alu instid0(VALU_DEP_4) | instskip(NEXT) | instid1(VALU_DEP_4)
	v_add_co_ci_u32_e32 v61, vcc_lo, 0, v54, vcc_lo
	v_add_co_u32 v68, vcc_lo, 0x1000, v52
	s_delay_alu instid0(VALU_DEP_4)
	v_add_co_ci_u32_e32 v69, vcc_lo, 0, v53, vcc_lo
	v_add_co_u32 v64, vcc_lo, 0x1ef0, v44
	v_add_co_ci_u32_e32 v65, vcc_lo, 0, v54, vcc_lo
	v_add_co_u32 v58, vcc_lo, 0x1000, v58
	;; [unrolled: 2-line block ×3, first 2 shown]
	v_add_co_ci_u32_e32 v79, vcc_lo, 0, v53, vcc_lo
	s_clause 0x5
	global_load_b128 v[52:55], v[56:57], off offset:16
	global_load_b128 v[56:59], v[58:59], off offset:3824
	global_load_b128 v[60:63], v[60:61], off offset:3824
	global_load_b128 v[64:67], v[64:65], off offset:16
	global_load_b128 v[74:77], v[68:69], off offset:3824
	global_load_b128 v[78:81], v[78:79], off offset:16
	v_mov_b32_e32 v44, v93
	v_add_co_u32 v40, vcc_lo, s10, v40
	v_add_co_ci_u32_e32 v41, vcc_lo, s11, v41, vcc_lo
	s_mov_b32 s7, 0x3febb67a
	s_mov_b32 s6, s2
	s_waitcnt vmcnt(5)
	v_mul_f64 v[68:69], v[6:7], v[54:55]
	s_waitcnt vmcnt(4)
	v_mul_f64 v[82:83], v[0:1], v[58:59]
	s_waitcnt vmcnt(3)
	v_mul_f64 v[84:85], v[10:11], v[62:63]
	s_waitcnt vmcnt(2)
	v_mul_f64 v[86:87], v[4:5], v[66:67]
	s_waitcnt lgkmcnt(3)
	v_mul_f64 v[66:67], v[20:21], v[66:67]
	s_waitcnt vmcnt(1)
	v_mul_f64 v[88:89], v[8:9], v[76:77]
	s_waitcnt vmcnt(0)
	v_mul_f64 v[90:91], v[2:3], v[80:81]
	v_mul_f64 v[76:77], v[12:13], v[76:77]
	;; [unrolled: 1-line block ×6, first 2 shown]
	v_fma_f64 v[22:23], v[22:23], v[52:53], -v[68:69]
	v_fma_f64 v[16:17], v[16:17], v[56:57], -v[82:83]
	;; [unrolled: 1-line block ×4, first 2 shown]
	v_fma_f64 v[4:5], v[4:5], v[64:65], v[66:67]
	v_fma_f64 v[12:13], v[12:13], v[74:75], -v[88:89]
	v_fma_f64 v[18:19], v[18:19], v[78:79], -v[90:91]
	v_fma_f64 v[8:9], v[8:9], v[74:75], v[76:77]
	v_fma_f64 v[68:69], v[2:3], v[78:79], v[80:81]
	v_fma_f64 v[10:11], v[10:11], v[60:61], v[62:63]
	v_fma_f64 v[0:1], v[0:1], v[56:57], v[58:59]
	v_fma_f64 v[6:7], v[6:7], v[52:53], v[54:55]
	v_mad_u64_u32 v[2:3], null, s8, v94, 0
	v_lshrrev_b32_e32 v54, 5, v96
	v_mad_u64_u32 v[52:53], null, s9, v70, v[44:45]
	v_mad_u64_u32 v[60:61], null, s8, v95, 0
	v_lshrrev_b32_e32 v55, 5, v97
	s_delay_alu instid0(VALU_DEP_4) | instskip(NEXT) | instid1(VALU_DEP_4)
	v_mad_u32_u24 v86, 0x3e8, v54, v72
	v_mov_b32_e32 v93, v52
	s_delay_alu instid0(VALU_DEP_3) | instskip(NEXT) | instid1(VALU_DEP_3)
	v_mad_u32_u24 v88, 0x3e8, v55, v73
	v_dual_mov_b32 v44, v61 :: v_dual_add_nc_u32 v101, 0x1f4, v86
	s_delay_alu instid0(VALU_DEP_3) | instskip(NEXT) | instid1(VALU_DEP_3)
	v_lshlrev_b64 v[84:85], 4, v[92:93]
	v_mad_u64_u32 v[57:58], null, s8, v88, 0
	s_delay_alu instid0(VALU_DEP_3) | instskip(NEXT) | instid1(VALU_DEP_3)
	v_mad_u64_u32 v[62:63], null, s8, v101, 0
	v_add_co_u32 v84, vcc_lo, v40, v84
	s_delay_alu instid0(VALU_DEP_4)
	v_add_co_ci_u32_e32 v85, vcc_lo, v41, v85, vcc_lo
	v_add_f64 v[66:67], v[16:17], v[22:23]
	s_waitcnt lgkmcnt(0)
	v_add_f64 v[89:90], v[50:51], v[16:17]
	v_add_f64 v[72:73], v[14:15], v[20:21]
	v_mad_u64_u32 v[53:54], null, s9, v94, v[3:4]
	v_add_f64 v[74:75], v[12:13], v[18:19]
	v_mad_u64_u32 v[54:55], null, s9, v95, v[44:45]
	v_add_f64 v[76:77], v[8:9], v[68:69]
	v_add_f64 v[80:81], v[10:11], v[4:5]
	v_mad_u64_u32 v[55:56], null, s8, v86, 0
	v_mov_b32_e32 v3, v53
	v_add_f64 v[52:53], v[0:1], v[6:7]
	v_add_nc_u32_e32 v103, 0x1f4, v88
	v_mov_b32_e32 v61, v54
	v_mov_b32_e32 v54, v58
	v_add_f64 v[97:98], v[36:37], v[8:9]
	v_mov_b32_e32 v44, v56
	v_add_f64 v[99:100], v[8:9], -v[68:69]
	v_add_f64 v[91:92], v[10:11], -v[4:5]
	v_add_f64 v[10:11], v[34:35], v[10:11]
	v_add_f64 v[95:96], v[46:47], v[12:13]
	v_mad_u64_u32 v[58:59], null, s9, v86, v[44:45]
	v_mov_b32_e32 v44, v63
	v_add_f64 v[12:13], v[12:13], -v[18:19]
	v_add_f64 v[93:94], v[48:49], v[14:15]
	v_mad_u64_u32 v[78:79], null, s8, v103, 0
	s_delay_alu instid0(VALU_DEP_4) | instskip(SKIP_3) | instid1(VALU_DEP_4)
	v_mad_u64_u32 v[8:9], null, s9, v101, v[44:45]
	v_add_nc_u32_e32 v104, 0x3e8, v88
	v_lshlrev_b64 v[60:61], 4, v[60:61]
	v_lshlrev_b64 v[2:3], 4, v[2:3]
	v_mov_b32_e32 v63, v8
	s_delay_alu instid0(VALU_DEP_4)
	v_mad_u64_u32 v[82:83], null, s8, v104, 0
	v_add_nc_u32_e32 v102, 0x3e8, v86
	v_mad_u64_u32 v[86:87], null, s9, v88, v[54:55]
	v_fma_f64 v[46:47], v[74:75], -0.5, v[46:47]
	v_add_f64 v[87:88], v[0:1], -v[6:7]
	v_fma_f64 v[36:37], v[76:77], -0.5, v[36:37]
	v_mov_b32_e32 v59, v83
	v_add_f64 v[0:1], v[32:33], v[0:1]
	v_fma_f64 v[50:51], v[66:67], -0.5, v[50:51]
	v_fma_f64 v[48:49], v[72:73], -0.5, v[48:49]
	v_add_f64 v[66:67], v[14:15], -v[20:21]
	v_fma_f64 v[72:73], v[80:81], -0.5, v[34:35]
	v_add_f64 v[74:75], v[16:17], -v[22:23]
	v_fma_f64 v[76:77], v[52:53], -0.5, v[32:33]
	v_mad_u64_u32 v[64:65], null, s8, v102, 0
	v_mov_b32_e32 v54, v79
	v_add_co_u32 v80, vcc_lo, v40, v2
	v_add_f64 v[4:5], v[10:11], v[4:5]
	v_add_f64 v[10:11], v[95:96], v[18:19]
	;; [unrolled: 1-line block ×3, first 2 shown]
	v_mov_b32_e32 v56, v65
	v_add_co_ci_u32_e32 v81, vcc_lo, v41, v3, vcc_lo
	v_add_f64 v[2:3], v[89:90], v[22:23]
	s_delay_alu instid0(VALU_DEP_3)
	v_mad_u64_u32 v[14:15], null, s9, v102, v[56:57]
	v_mad_u64_u32 v[15:16], null, s9, v103, v[54:55]
	;; [unrolled: 1-line block ×3, first 2 shown]
	v_mov_b32_e32 v56, v58
	v_mov_b32_e32 v58, v86
	v_mov_b32_e32 v65, v14
	v_add_co_u32 v59, vcc_lo, v40, v60
	v_mov_b32_e32 v79, v15
	v_mov_b32_e32 v83, v16
	v_lshlrev_b64 v[54:55], 4, v[55:56]
	v_fma_f64 v[34:35], v[99:100], s[6:7], v[46:47]
	v_fma_f64 v[22:23], v[99:100], s[2:3], v[46:47]
	;; [unrolled: 1-line block ×3, first 2 shown]
	v_add_co_ci_u32_e32 v60, vcc_lo, v41, v61, vcc_lo
	v_add_f64 v[0:1], v[0:1], v[6:7]
	v_add_f64 v[6:7], v[93:94], v[20:21]
	v_fma_f64 v[20:21], v[12:13], s[6:7], v[36:37]
	v_fma_f64 v[18:19], v[91:92], s[2:3], v[48:49]
	;; [unrolled: 1-line block ×9, first 2 shown]
	v_lshlrev_b64 v[36:37], 4, v[57:58]
	v_lshlrev_b64 v[56:57], 4, v[62:63]
	v_add_co_u32 v54, vcc_lo, v40, v54
	v_add_co_ci_u32_e32 v55, vcc_lo, v41, v55, vcc_lo
	v_lshlrev_b64 v[61:62], 4, v[64:65]
	v_add_co_u32 v36, vcc_lo, v40, v36
	v_add_co_ci_u32_e32 v37, vcc_lo, v41, v37, vcc_lo
	;; [unrolled: 3-line block ×4, first 2 shown]
	v_add_co_u32 v63, vcc_lo, v40, v63
	v_add_co_ci_u32_e32 v64, vcc_lo, v41, v64, vcc_lo
	v_add_co_u32 v65, vcc_lo, v40, v65
	v_add_co_ci_u32_e32 v66, vcc_lo, v41, v66, vcc_lo
	s_clause 0x8
	global_store_b128 v[84:85], v[8:11], off
	global_store_b128 v[80:81], v[32:35], off
	;; [unrolled: 1-line block ×9, first 2 shown]
	s_and_b32 exec_lo, exec_lo, s0
	s_cbranch_execz .LBB0_20
; %bb.19:
	v_subrev_nc_u32_e32 v0, 50, v70
	v_add_nc_u32_e32 v32, 0x5aa, v70
	s_delay_alu instid0(VALU_DEP_2) | instskip(NEXT) | instid1(VALU_DEP_1)
	v_cndmask_b32_e64 v0, v0, v71, s0
	v_lshlrev_b32_e32 v44, 1, v0
	s_delay_alu instid0(VALU_DEP_1) | instskip(NEXT) | instid1(VALU_DEP_1)
	v_lshlrev_b64 v[0:1], 4, v[44:45]
	v_add_co_u32 v2, vcc_lo, s4, v0
	s_delay_alu instid0(VALU_DEP_2) | instskip(NEXT) | instid1(VALU_DEP_2)
	v_add_co_ci_u32_e32 v3, vcc_lo, s5, v1, vcc_lo
	v_add_co_u32 v0, vcc_lo, 0x1000, v2
	s_delay_alu instid0(VALU_DEP_2)
	v_add_co_ci_u32_e32 v1, vcc_lo, 0, v3, vcc_lo
	v_add_co_u32 v4, vcc_lo, 0x1ef0, v2
	v_add_co_ci_u32_e32 v5, vcc_lo, 0, v3, vcc_lo
	s_clause 0x1
	global_load_b128 v[0:3], v[0:1], off offset:3824
	global_load_b128 v[4:7], v[4:5], off offset:16
	s_waitcnt vmcnt(1)
	v_mul_f64 v[8:9], v[42:43], v[2:3]
	s_waitcnt vmcnt(0)
	v_mul_f64 v[10:11], v[38:39], v[6:7]
	v_mul_f64 v[2:3], v[28:29], v[2:3]
	;; [unrolled: 1-line block ×3, first 2 shown]
	s_delay_alu instid0(VALU_DEP_4) | instskip(NEXT) | instid1(VALU_DEP_4)
	v_fma_f64 v[8:9], v[28:29], v[0:1], v[8:9]
	v_fma_f64 v[10:11], v[26:27], v[4:5], v[10:11]
	s_delay_alu instid0(VALU_DEP_4) | instskip(NEXT) | instid1(VALU_DEP_4)
	v_fma_f64 v[0:1], v[42:43], v[0:1], -v[2:3]
	v_fma_f64 v[2:3], v[38:39], v[4:5], -v[6:7]
	v_mad_u64_u32 v[28:29], null, s8, v32, 0
	v_add_f64 v[12:13], v[24:25], v[8:9]
	v_add_f64 v[4:5], v[8:9], v[10:11]
	;; [unrolled: 1-line block ×4, first 2 shown]
	v_add_f64 v[14:15], v[0:1], -v[2:3]
	v_add_f64 v[20:21], v[8:9], -v[10:11]
	v_add_f64 v[0:1], v[12:13], v[10:11]
	v_mov_b32_e32 v13, v29
	v_fma_f64 v[18:19], v[4:5], -0.5, v[24:25]
	v_fma_f64 v[22:23], v[6:7], -0.5, v[30:31]
	v_add_nc_u32_e32 v31, 0x3b6, v70
	v_add_nc_u32_e32 v30, 0x1c2, v70
	v_add_f64 v[2:3], v[16:17], v[2:3]
	s_delay_alu instid0(VALU_DEP_3) | instskip(NEXT) | instid1(VALU_DEP_3)
	v_mad_u64_u32 v[26:27], null, s8, v31, 0
	v_mad_u64_u32 v[24:25], null, s8, v30, 0
	s_delay_alu instid0(VALU_DEP_2)
	v_mov_b32_e32 v12, v27
	v_fma_f64 v[4:5], v[14:15], s[2:3], v[18:19]
	v_fma_f64 v[6:7], v[20:21], s[6:7], v[22:23]
	;; [unrolled: 1-line block ×4, first 2 shown]
	v_mad_u64_u32 v[14:15], null, s9, v30, v[25:26]
	v_mad_u64_u32 v[15:16], null, s9, v31, v[12:13]
	s_delay_alu instid0(VALU_DEP_2) | instskip(NEXT) | instid1(VALU_DEP_2)
	v_mov_b32_e32 v25, v14
	v_mov_b32_e32 v27, v15
	v_mad_u64_u32 v[16:17], null, s9, v32, v[13:14]
	s_delay_alu instid0(VALU_DEP_3) | instskip(NEXT) | instid1(VALU_DEP_3)
	v_lshlrev_b64 v[12:13], 4, v[24:25]
	v_lshlrev_b64 v[14:15], 4, v[26:27]
	s_delay_alu instid0(VALU_DEP_3) | instskip(NEXT) | instid1(VALU_DEP_3)
	v_mov_b32_e32 v29, v16
	v_add_co_u32 v12, vcc_lo, v40, v12
	s_delay_alu instid0(VALU_DEP_4) | instskip(NEXT) | instid1(VALU_DEP_3)
	v_add_co_ci_u32_e32 v13, vcc_lo, v41, v13, vcc_lo
	v_lshlrev_b64 v[16:17], 4, v[28:29]
	v_add_co_u32 v14, vcc_lo, v40, v14
	v_add_co_ci_u32_e32 v15, vcc_lo, v41, v15, vcc_lo
	s_delay_alu instid0(VALU_DEP_3) | instskip(NEXT) | instid1(VALU_DEP_4)
	v_add_co_u32 v16, vcc_lo, v40, v16
	v_add_co_ci_u32_e32 v17, vcc_lo, v41, v17, vcc_lo
	s_clause 0x2
	global_store_b128 v[12:13], v[0:3], off
	global_store_b128 v[14:15], v[4:7], off
	;; [unrolled: 1-line block ×3, first 2 shown]
.LBB0_20:
	s_nop 0
	s_sendmsg sendmsg(MSG_DEALLOC_VGPRS)
	s_endpgm
	.section	.rodata,"a",@progbits
	.p2align	6, 0x0
	.amdhsa_kernel fft_rtc_back_len1500_factors_5_10_10_3_wgs_150_tpt_150_halfLds_dp_ip_CI_sbrr_dirReg
		.amdhsa_group_segment_fixed_size 0
		.amdhsa_private_segment_fixed_size 0
		.amdhsa_kernarg_size 88
		.amdhsa_user_sgpr_count 15
		.amdhsa_user_sgpr_dispatch_ptr 0
		.amdhsa_user_sgpr_queue_ptr 0
		.amdhsa_user_sgpr_kernarg_segment_ptr 1
		.amdhsa_user_sgpr_dispatch_id 0
		.amdhsa_user_sgpr_private_segment_size 0
		.amdhsa_wavefront_size32 1
		.amdhsa_uses_dynamic_stack 0
		.amdhsa_enable_private_segment 0
		.amdhsa_system_sgpr_workgroup_id_x 1
		.amdhsa_system_sgpr_workgroup_id_y 0
		.amdhsa_system_sgpr_workgroup_id_z 0
		.amdhsa_system_sgpr_workgroup_info 0
		.amdhsa_system_vgpr_workitem_id 0
		.amdhsa_next_free_vgpr 105
		.amdhsa_next_free_sgpr 23
		.amdhsa_reserve_vcc 1
		.amdhsa_float_round_mode_32 0
		.amdhsa_float_round_mode_16_64 0
		.amdhsa_float_denorm_mode_32 3
		.amdhsa_float_denorm_mode_16_64 3
		.amdhsa_dx10_clamp 1
		.amdhsa_ieee_mode 1
		.amdhsa_fp16_overflow 0
		.amdhsa_workgroup_processor_mode 1
		.amdhsa_memory_ordered 1
		.amdhsa_forward_progress 0
		.amdhsa_shared_vgpr_count 0
		.amdhsa_exception_fp_ieee_invalid_op 0
		.amdhsa_exception_fp_denorm_src 0
		.amdhsa_exception_fp_ieee_div_zero 0
		.amdhsa_exception_fp_ieee_overflow 0
		.amdhsa_exception_fp_ieee_underflow 0
		.amdhsa_exception_fp_ieee_inexact 0
		.amdhsa_exception_int_div_zero 0
	.end_amdhsa_kernel
	.text
.Lfunc_end0:
	.size	fft_rtc_back_len1500_factors_5_10_10_3_wgs_150_tpt_150_halfLds_dp_ip_CI_sbrr_dirReg, .Lfunc_end0-fft_rtc_back_len1500_factors_5_10_10_3_wgs_150_tpt_150_halfLds_dp_ip_CI_sbrr_dirReg
                                        ; -- End function
	.section	.AMDGPU.csdata,"",@progbits
; Kernel info:
; codeLenInByte = 9408
; NumSgprs: 25
; NumVgprs: 105
; ScratchSize: 0
; MemoryBound: 1
; FloatMode: 240
; IeeeMode: 1
; LDSByteSize: 0 bytes/workgroup (compile time only)
; SGPRBlocks: 3
; VGPRBlocks: 13
; NumSGPRsForWavesPerEU: 25
; NumVGPRsForWavesPerEU: 105
; Occupancy: 12
; WaveLimiterHint : 1
; COMPUTE_PGM_RSRC2:SCRATCH_EN: 0
; COMPUTE_PGM_RSRC2:USER_SGPR: 15
; COMPUTE_PGM_RSRC2:TRAP_HANDLER: 0
; COMPUTE_PGM_RSRC2:TGID_X_EN: 1
; COMPUTE_PGM_RSRC2:TGID_Y_EN: 0
; COMPUTE_PGM_RSRC2:TGID_Z_EN: 0
; COMPUTE_PGM_RSRC2:TIDIG_COMP_CNT: 0
	.text
	.p2alignl 7, 3214868480
	.fill 96, 4, 3214868480
	.type	__hip_cuid_781b17945f51acad,@object ; @__hip_cuid_781b17945f51acad
	.section	.bss,"aw",@nobits
	.globl	__hip_cuid_781b17945f51acad
__hip_cuid_781b17945f51acad:
	.byte	0                               ; 0x0
	.size	__hip_cuid_781b17945f51acad, 1

	.ident	"AMD clang version 19.0.0git (https://github.com/RadeonOpenCompute/llvm-project roc-6.4.0 25133 c7fe45cf4b819c5991fe208aaa96edf142730f1d)"
	.section	".note.GNU-stack","",@progbits
	.addrsig
	.addrsig_sym __hip_cuid_781b17945f51acad
	.amdgpu_metadata
---
amdhsa.kernels:
  - .args:
      - .actual_access:  read_only
        .address_space:  global
        .offset:         0
        .size:           8
        .value_kind:     global_buffer
      - .offset:         8
        .size:           8
        .value_kind:     by_value
      - .actual_access:  read_only
        .address_space:  global
        .offset:         16
        .size:           8
        .value_kind:     global_buffer
      - .actual_access:  read_only
        .address_space:  global
        .offset:         24
        .size:           8
        .value_kind:     global_buffer
      - .offset:         32
        .size:           8
        .value_kind:     by_value
      - .actual_access:  read_only
        .address_space:  global
        .offset:         40
        .size:           8
        .value_kind:     global_buffer
      - .actual_access:  read_only
        .address_space:  global
        .offset:         48
        .size:           8
        .value_kind:     global_buffer
      - .offset:         56
        .size:           4
        .value_kind:     by_value
      - .actual_access:  read_only
        .address_space:  global
        .offset:         64
        .size:           8
        .value_kind:     global_buffer
      - .actual_access:  read_only
        .address_space:  global
        .offset:         72
        .size:           8
        .value_kind:     global_buffer
      - .address_space:  global
        .offset:         80
        .size:           8
        .value_kind:     global_buffer
    .group_segment_fixed_size: 0
    .kernarg_segment_align: 8
    .kernarg_segment_size: 88
    .language:       OpenCL C
    .language_version:
      - 2
      - 0
    .max_flat_workgroup_size: 150
    .name:           fft_rtc_back_len1500_factors_5_10_10_3_wgs_150_tpt_150_halfLds_dp_ip_CI_sbrr_dirReg
    .private_segment_fixed_size: 0
    .sgpr_count:     25
    .sgpr_spill_count: 0
    .symbol:         fft_rtc_back_len1500_factors_5_10_10_3_wgs_150_tpt_150_halfLds_dp_ip_CI_sbrr_dirReg.kd
    .uniform_work_group_size: 1
    .uses_dynamic_stack: false
    .vgpr_count:     105
    .vgpr_spill_count: 0
    .wavefront_size: 32
    .workgroup_processor_mode: 1
amdhsa.target:   amdgcn-amd-amdhsa--gfx1100
amdhsa.version:
  - 1
  - 2
...

	.end_amdgpu_metadata
